;; amdgpu-corpus repo=zjin-lcf/HeCBench kind=compiled arch=gfx1030 opt=O3
	.amdgcn_target "amdgcn-amd-amdhsa--gfx1030"
	.amdhsa_code_object_version 6
	.text
	.protected	_Z7rombergddPd          ; -- Begin function _Z7rombergddPd
	.globl	_Z7rombergddPd
	.p2align	8
	.type	_Z7rombergddPd,@function
_Z7rombergddPd:                         ; @_Z7rombergddPd
; %bb.0:
	s_add_u32 s0, s0, s7
	s_clause 0x3
	s_load_dwordx4 s[8:11], s[4:5], 0x0
	s_load_dword s7, s[4:5], 0x18
	s_load_dwordx2 s[12:13], s[4:5], 0x10
	s_load_dword s5, s[4:5], 0x24
	s_addc_u32 s1, s1, 0
	s_add_i32 s4, s6, 1
	v_mov_b32_e32 v15, v0
	s_waitcnt lgkmcnt(0)
	v_add_f64 v[1:2], s[10:11], -s[8:9]
	v_cvt_f64_u32_e32 v[3:4], s7
	s_and_b32 s33, s5, 0xffff
	v_div_scale_f64 v[5:6], null, v[3:4], v[3:4], v[1:2]
	v_div_scale_f64 v[11:12], vcc_lo, v[1:2], v[3:4], v[1:2]
	v_rcp_f64_e32 v[7:8], v[5:6]
	v_fma_f64 v[9:10], -v[5:6], v[7:8], 1.0
	v_fma_f64 v[7:8], v[7:8], v[9:10], v[7:8]
	v_fma_f64 v[9:10], -v[5:6], v[7:8], 1.0
	v_fma_f64 v[7:8], v[7:8], v[9:10], v[7:8]
	v_mul_f64 v[9:10], v[11:12], v[7:8]
	v_fma_f64 v[5:6], -v[5:6], v[9:10], v[11:12]
	v_div_fmas_f64 v[5:6], v[5:6], v[7:8], v[9:10]
	v_cvt_f64_u32_e32 v[7:8], s4
	v_mov_b32_e32 v9, 0
	v_cmp_eq_u32_e64 s4, 0, v0
	buffer_store_dword v9, off, s[0:3], 0 offset:4
	buffer_store_dword v9, off, s[0:3], 0
	buffer_store_dword v9, off, s[0:3], 0 offset:12
	buffer_store_dword v9, off, s[0:3], 0 offset:8
	;; [unrolled: 1-line block ×32, first 2 shown]
	v_div_fixup_f64 v[1:2], v[5:6], v[3:4], v[1:2]
	v_cvt_f64_u32_e32 v[5:6], s6
	v_fma_f64 v[3:4], v[1:2], v[7:8], s[8:9]
	v_fma_f64 v[1:2], v[1:2], v[5:6], s[8:9]
	s_and_saveexec_b32 s11, s4
	s_cbranch_execz .LBB0_10
; %bb.1:
	v_cmp_ngt_f64_e64 s5, 0x41d00000, |v[1:2]|
	s_and_b32 vcc_lo, exec_lo, s5
	s_cbranch_vccz .LBB0_3
; %bb.2:
	v_ldexp_f64 v[5:6], |v[1:2]|, 0xffffff80
	v_cmp_le_f64_e64 vcc_lo, 0x7b000000, |v[1:2]|
	v_trig_preop_f64 v[7:8], |v[1:2]|, 0
	v_and_b32_e32 v9, 0x7fffffff, v2
	v_trig_preop_f64 v[19:20], |v[1:2]|, 2
	s_mov_b32 s8, 0
	s_mov_b32 s14, 0x54442d18
	;; [unrolled: 1-line block ×5, first 2 shown]
	v_cndmask_b32_e32 v6, v9, v6, vcc_lo
	v_cndmask_b32_e32 v5, v1, v5, vcc_lo
	v_trig_preop_f64 v[9:10], |v[1:2]|, 1
	v_mul_f64 v[11:12], v[7:8], v[5:6]
	v_mul_f64 v[25:26], v[19:20], v[5:6]
	;; [unrolled: 1-line block ×3, first 2 shown]
	v_fma_f64 v[7:8], v[7:8], v[5:6], -v[11:12]
	v_fma_f64 v[9:10], v[9:10], v[5:6], -v[13:14]
	;; [unrolled: 1-line block ×3, first 2 shown]
	v_add_f64 v[15:16], v[13:14], v[7:8]
	v_add_f64 v[17:18], v[15:16], -v[13:14]
	v_add_f64 v[23:24], v[11:12], v[15:16]
	v_add_f64 v[21:22], v[15:16], -v[17:18]
	v_add_f64 v[7:8], v[7:8], -v[17:18]
	v_ldexp_f64 v[17:18], v[23:24], -2
	v_add_f64 v[11:12], v[23:24], -v[11:12]
	v_add_f64 v[13:14], v[13:14], -v[21:22]
	v_add_f64 v[21:22], v[25:26], v[9:10]
	v_cmp_neq_f64_e64 vcc_lo, 0x7ff00000, |v[17:18]|
	v_add_f64 v[11:12], v[15:16], -v[11:12]
	v_add_f64 v[7:8], v[7:8], v[13:14]
	v_fract_f64_e32 v[13:14], v[17:18]
	v_add_f64 v[15:16], v[21:22], v[7:8]
	v_ldexp_f64 v[13:14], v[13:14], 2
	v_add_f64 v[17:18], v[11:12], v[15:16]
	v_cndmask_b32_e32 v14, 0, v14, vcc_lo
	v_cndmask_b32_e32 v13, 0, v13, vcc_lo
	v_add_f64 v[27:28], v[15:16], -v[21:22]
	v_add_f64 v[23:24], v[17:18], v[13:14]
	v_add_f64 v[11:12], v[17:18], -v[11:12]
	v_add_f64 v[33:34], v[15:16], -v[27:28]
	;; [unrolled: 1-line block ×3, first 2 shown]
	v_cmp_gt_f64_e32 vcc_lo, 0, v[23:24]
	v_add_f64 v[23:24], v[21:22], -v[25:26]
	v_add_f64 v[11:12], v[15:16], -v[11:12]
	s_and_b32 s5, vcc_lo, exec_lo
	s_cselect_b32 s9, 0x40100000, 0
	v_add_f64 v[31:32], v[21:22], -v[23:24]
	v_add_f64 v[13:14], v[13:14], s[8:9]
	v_add_f64 v[9:10], v[9:10], -v[23:24]
	v_add_f64 v[21:22], v[21:22], -v[33:34]
	v_add_f64 v[23:24], v[25:26], -v[31:32]
	v_add_f64 v[29:30], v[17:18], v[13:14]
	v_add_f64 v[7:8], v[7:8], v[21:22]
	;; [unrolled: 1-line block ×3, first 2 shown]
	v_cvt_i32_f64_e32 v29, v[29:30]
	v_add_f64 v[7:8], v[9:10], v[7:8]
	v_cvt_f64_i32_e32 v[27:28], v29
	v_add_f64 v[5:6], v[5:6], v[7:8]
	v_add_f64 v[13:14], v[13:14], -v[27:28]
	v_add_f64 v[5:6], v[11:12], v[5:6]
	v_add_f64 v[9:10], v[17:18], v[13:14]
	v_add_f64 v[7:8], v[9:10], -v[13:14]
	v_cmp_le_f64_e32 vcc_lo, 0.5, v[9:10]
	v_add_f64 v[7:8], v[17:18], -v[7:8]
	s_and_b32 s5, vcc_lo, exec_lo
	s_cselect_b32 s9, 0x3ff00000, 0
	v_add_co_ci_u32_e64 v13, null, 0, v29, vcc_lo
	v_add_f64 v[5:6], v[5:6], v[7:8]
	v_add_f64 v[7:8], v[9:10], -s[8:9]
	v_add_f64 v[9:10], v[7:8], v[5:6]
	v_mul_f64 v[11:12], v[9:10], s[14:15]
	v_add_f64 v[7:8], v[9:10], -v[7:8]
	v_fma_f64 v[14:15], v[9:10], s[14:15], -v[11:12]
	v_add_f64 v[5:6], v[5:6], -v[7:8]
	v_fma_f64 v[7:8], v[9:10], s[16:17], v[14:15]
	v_fma_f64 v[7:8], v[5:6], s[14:15], v[7:8]
	v_add_f64 v[5:6], v[11:12], v[7:8]
	v_add_f64 v[9:10], v[5:6], -v[11:12]
	v_add_f64 v[7:8], v[7:8], -v[9:10]
	s_cbranch_execz .LBB0_4
	s_branch .LBB0_5
.LBB0_3:
                                        ; implicit-def: $vgpr13
                                        ; implicit-def: $vgpr5_vgpr6
                                        ; implicit-def: $vgpr7_vgpr8
.LBB0_4:
	s_mov_b32 s8, 0x6dc9c883
	s_mov_b32 s9, 0x3fe45f30
	;; [unrolled: 1-line block ×3, first 2 shown]
	v_mul_f64 v[5:6], |v[1:2]|, s[8:9]
	s_mov_b32 s8, 0x54442d18
	s_mov_b32 s9, 0xbff921fb
	;; [unrolled: 1-line block ×3, first 2 shown]
	v_rndne_f64_e32 v[9:10], v[5:6]
	v_fma_f64 v[5:6], v[9:10], s[8:9], |v[1:2]|
	v_mul_f64 v[7:8], v[9:10], s[14:15]
	s_mov_b32 s8, 0x252049c0
	s_mov_b32 s9, 0xb97b839a
	v_fma_f64 v[13:14], v[9:10], s[14:15], v[5:6]
	v_add_f64 v[11:12], v[5:6], v[7:8]
	s_mov_b32 s15, 0x3c91a626
	v_add_f64 v[5:6], v[5:6], -v[11:12]
	v_add_f64 v[11:12], v[11:12], -v[13:14]
	v_add_f64 v[5:6], v[5:6], v[7:8]
	v_fma_f64 v[7:8], v[9:10], s[14:15], v[7:8]
	v_add_f64 v[5:6], v[11:12], v[5:6]
	v_add_f64 v[5:6], v[5:6], -v[7:8]
	v_fma_f64 v[7:8], v[9:10], s[8:9], v[5:6]
	v_add_f64 v[5:6], v[13:14], v[7:8]
	v_add_f64 v[11:12], v[5:6], -v[13:14]
	v_cvt_i32_f64_e32 v13, v[9:10]
	v_add_f64 v[7:8], v[7:8], -v[11:12]
.LBB0_5:
	v_cmp_ngt_f64_e64 s5, 0x41d00000, |v[3:4]|
	s_and_b32 vcc_lo, exec_lo, s5
	s_cbranch_vccz .LBB0_7
; %bb.6:
	v_ldexp_f64 v[9:10], |v[3:4]|, 0xffffff80
	v_cmp_le_f64_e64 vcc_lo, 0x7b000000, |v[3:4]|
	v_trig_preop_f64 v[11:12], |v[3:4]|, 0
	v_and_b32_e32 v14, 0x7fffffff, v4
	v_trig_preop_f64 v[24:25], |v[3:4]|, 2
	s_mov_b32 s8, 0
	s_mov_b32 s14, 0x54442d18
	;; [unrolled: 1-line block ×5, first 2 shown]
	v_cndmask_b32_e32 v10, v14, v10, vcc_lo
	v_cndmask_b32_e32 v9, v3, v9, vcc_lo
	v_trig_preop_f64 v[14:15], |v[3:4]|, 1
	v_mul_f64 v[16:17], v[11:12], v[9:10]
	v_mul_f64 v[30:31], v[24:25], v[9:10]
	;; [unrolled: 1-line block ×3, first 2 shown]
	v_fma_f64 v[11:12], v[11:12], v[9:10], -v[16:17]
	v_fma_f64 v[14:15], v[14:15], v[9:10], -v[18:19]
	;; [unrolled: 1-line block ×3, first 2 shown]
	v_add_f64 v[20:21], v[18:19], v[11:12]
	v_add_f64 v[22:23], v[20:21], -v[18:19]
	v_add_f64 v[28:29], v[16:17], v[20:21]
	v_add_f64 v[26:27], v[20:21], -v[22:23]
	v_add_f64 v[11:12], v[11:12], -v[22:23]
	v_ldexp_f64 v[22:23], v[28:29], -2
	v_add_f64 v[16:17], v[28:29], -v[16:17]
	v_add_f64 v[18:19], v[18:19], -v[26:27]
	v_add_f64 v[26:27], v[30:31], v[14:15]
	v_cmp_neq_f64_e64 vcc_lo, 0x7ff00000, |v[22:23]|
	v_add_f64 v[16:17], v[20:21], -v[16:17]
	v_add_f64 v[11:12], v[11:12], v[18:19]
	v_fract_f64_e32 v[18:19], v[22:23]
	v_add_f64 v[20:21], v[26:27], v[11:12]
	v_ldexp_f64 v[18:19], v[18:19], 2
	v_add_f64 v[22:23], v[16:17], v[20:21]
	v_cndmask_b32_e32 v19, 0, v19, vcc_lo
	v_cndmask_b32_e32 v18, 0, v18, vcc_lo
	v_add_f64 v[32:33], v[20:21], -v[26:27]
	v_add_f64 v[28:29], v[22:23], v[18:19]
	v_add_f64 v[16:17], v[22:23], -v[16:17]
	v_add_f64 v[38:39], v[20:21], -v[32:33]
	;; [unrolled: 1-line block ×3, first 2 shown]
	v_cmp_gt_f64_e32 vcc_lo, 0, v[28:29]
	v_add_f64 v[28:29], v[26:27], -v[30:31]
	s_and_b32 s5, vcc_lo, exec_lo
	s_cselect_b32 s9, 0x40100000, 0
	v_add_f64 v[36:37], v[26:27], -v[28:29]
	v_add_f64 v[18:19], v[18:19], s[8:9]
	v_add_f64 v[14:15], v[14:15], -v[28:29]
	v_add_f64 v[26:27], v[26:27], -v[38:39]
	;; [unrolled: 1-line block ×3, first 2 shown]
	v_add_f64 v[34:35], v[22:23], v[18:19]
	v_add_f64 v[11:12], v[11:12], v[26:27]
	;; [unrolled: 1-line block ×3, first 2 shown]
	v_cvt_i32_f64_e32 v34, v[34:35]
	v_add_f64 v[11:12], v[14:15], v[11:12]
	v_cvt_f64_i32_e32 v[32:33], v34
	v_add_f64 v[14:15], v[20:21], -v[16:17]
	v_add_f64 v[9:10], v[9:10], v[11:12]
	v_add_f64 v[18:19], v[18:19], -v[32:33]
	v_add_f64 v[9:10], v[14:15], v[9:10]
	v_add_f64 v[24:25], v[22:23], v[18:19]
	v_add_f64 v[11:12], v[24:25], -v[18:19]
	v_cmp_le_f64_e32 vcc_lo, 0.5, v[24:25]
	v_add_f64 v[11:12], v[22:23], -v[11:12]
	s_and_b32 s5, vcc_lo, exec_lo
	s_cselect_b32 s9, 0x3ff00000, 0
	v_add_co_ci_u32_e64 v14, null, 0, v34, vcc_lo
	v_add_f64 v[9:10], v[9:10], v[11:12]
	v_add_f64 v[11:12], v[24:25], -s[8:9]
	v_add_f64 v[15:16], v[11:12], v[9:10]
	v_mul_f64 v[17:18], v[15:16], s[14:15]
	v_add_f64 v[11:12], v[15:16], -v[11:12]
	v_fma_f64 v[19:20], v[15:16], s[14:15], -v[17:18]
	v_add_f64 v[9:10], v[9:10], -v[11:12]
	v_fma_f64 v[11:12], v[15:16], s[16:17], v[19:20]
	v_fma_f64 v[11:12], v[9:10], s[14:15], v[11:12]
	v_add_f64 v[9:10], v[17:18], v[11:12]
	v_add_f64 v[15:16], v[9:10], -v[17:18]
	v_add_f64 v[11:12], v[11:12], -v[15:16]
	s_cbranch_execz .LBB0_8
	s_branch .LBB0_9
.LBB0_7:
                                        ; implicit-def: $vgpr14
                                        ; implicit-def: $vgpr9_vgpr10
                                        ; implicit-def: $vgpr11_vgpr12
.LBB0_8:
	s_mov_b32 s8, 0x6dc9c883
	s_mov_b32 s9, 0x3fe45f30
	;; [unrolled: 1-line block ×3, first 2 shown]
	v_mul_f64 v[9:10], |v[3:4]|, s[8:9]
	s_mov_b32 s8, 0x54442d18
	s_mov_b32 s9, 0xbff921fb
	;; [unrolled: 1-line block ×3, first 2 shown]
	v_rndne_f64_e32 v[14:15], v[9:10]
	v_fma_f64 v[9:10], v[14:15], s[8:9], |v[3:4]|
	v_mul_f64 v[11:12], v[14:15], s[14:15]
	s_mov_b32 s8, 0x252049c0
	s_mov_b32 s9, 0xb97b839a
	v_fma_f64 v[18:19], v[14:15], s[14:15], v[9:10]
	v_add_f64 v[16:17], v[9:10], v[11:12]
	s_mov_b32 s15, 0x3c91a626
	v_add_f64 v[9:10], v[9:10], -v[16:17]
	v_add_f64 v[16:17], v[16:17], -v[18:19]
	v_add_f64 v[9:10], v[9:10], v[11:12]
	v_fma_f64 v[11:12], v[14:15], s[14:15], v[11:12]
	v_add_f64 v[9:10], v[16:17], v[9:10]
	v_add_f64 v[9:10], v[9:10], -v[11:12]
	v_fma_f64 v[11:12], v[14:15], s[8:9], v[9:10]
	v_cvt_i32_f64_e32 v14, v[14:15]
	v_add_f64 v[9:10], v[18:19], v[11:12]
	v_add_f64 v[16:17], v[9:10], -v[18:19]
	v_add_f64 v[11:12], v[11:12], -v[16:17]
.LBB0_9:
	s_mov_b32 s8, 0x652b82fe
	s_mov_b32 s9, 0x3ff71547
	;; [unrolled: 1-line block ×3, first 2 shown]
	v_mul_f64 v[15:16], v[3:4], s[8:9]
	v_mul_f64 v[17:18], v[1:2], s[8:9]
	s_mov_b32 s8, 0xfefa39ef
	s_mov_b32 s9, 0xbfe62e42
	;; [unrolled: 1-line block ×5, first 2 shown]
	v_mul_f64 v[27:28], v[9:10], v[9:10]
	v_mul_f64 v[29:30], v[5:6], v[5:6]
	s_mov_b32 s18, 0x1852b7b0
	s_mov_b32 s22, 0x796cde01
	;; [unrolled: 1-line block ×6, first 2 shown]
	v_mul_f64 v[45:46], v[11:12], 0.5
	v_mul_f64 v[53:54], v[7:8], 0.5
	v_cmp_class_f64_e64 s5, v[3:4], 0x1f8
	v_cmp_nlt_f64_e64 s7, 0x40900000, v[3:4]
	v_cmp_ngt_f64_e64 s10, 0xc090cc00, v[1:2]
	v_rndne_f64_e32 v[15:16], v[15:16]
	v_rndne_f64_e32 v[17:18], v[17:18]
	v_mul_f64 v[37:38], v[27:28], 0.5
	v_mul_f64 v[39:40], v[29:30], 0.5
	v_mul_f64 v[47:48], v[9:10], -v[27:28]
	v_mul_f64 v[55:56], v[5:6], -v[29:30]
	v_fma_f64 v[19:20], v[15:16], s[8:9], v[3:4]
	v_fma_f64 v[21:22], v[17:18], s[8:9], v[1:2]
	s_mov_b32 s8, 0xfca7ab0c
	s_mov_b32 s9, 0x3e928af3
	v_add_f64 v[43:44], -v[37:38], 1.0
	v_add_f64 v[49:50], -v[39:40], 1.0
	v_fma_f64 v[19:20], v[15:16], s[14:15], v[19:20]
	v_fma_f64 v[21:22], v[17:18], s[14:15], v[21:22]
	s_mov_b32 s14, 0x623fde64
	s_mov_b32 s15, 0x3ec71dee
	v_add_f64 v[51:52], -v[43:44], 1.0
	v_add_f64 v[57:58], -v[49:50], 1.0
	v_fma_f64 v[23:24], v[19:20], s[16:17], s[8:9]
	v_fma_f64 v[25:26], v[21:22], s[16:17], s[8:9]
	s_mov_b32 s8, 0x7c89e6b0
	s_mov_b32 s9, 0x3efa0199
	;; [unrolled: 1-line block ×4, first 2 shown]
	v_add_f64 v[37:38], v[51:52], -v[37:38]
	v_add_f64 v[39:40], v[57:58], -v[39:40]
	v_fma_f64 v[23:24], v[19:20], v[23:24], s[14:15]
	v_fma_f64 v[25:26], v[21:22], v[25:26], s[14:15]
	s_mov_b32 s14, 0x14761f6e
	s_mov_b32 s15, 0x3f2a01a0
	v_fma_f64 v[37:38], v[9:10], -v[11:12], v[37:38]
	v_fma_f64 v[39:40], v[5:6], -v[7:8], v[39:40]
	v_fma_f64 v[23:24], v[19:20], v[23:24], s[8:9]
	v_fma_f64 v[25:26], v[21:22], v[25:26], s[8:9]
	s_mov_b32 s8, 0xb42fdfa7
	s_mov_b32 s9, 0xbe5ae600
	v_fma_f64 v[31:32], v[27:28], s[16:17], s[8:9]
	v_fma_f64 v[33:34], v[29:30], s[16:17], s[8:9]
	s_mov_b32 s8, 0x11122322
	s_mov_b32 s9, 0x3f811111
	;; [unrolled: 1-line block ×4, first 2 shown]
	v_fma_f64 v[23:24], v[19:20], v[23:24], s[14:15]
	v_fma_f64 v[25:26], v[21:22], v[25:26], s[14:15]
	s_mov_b32 s14, 0x9037ab78
	s_mov_b32 s15, 0x3e21eeb6
	v_fma_f64 v[31:32], v[27:28], v[31:32], s[22:23]
	v_fma_f64 v[35:36], v[27:28], s[20:21], s[14:15]
	;; [unrolled: 1-line block ×4, first 2 shown]
	s_mov_b32 s14, 0x555502a1
	s_mov_b32 s15, 0x3fa55555
	;; [unrolled: 1-line block ×4, first 2 shown]
	v_fma_f64 v[23:24], v[19:20], v[23:24], s[18:19]
	v_fma_f64 v[25:26], v[21:22], v[25:26], s[18:19]
	s_mov_b32 s18, 0x19e83e5c
	s_mov_b32 s19, 0xbf2a01a0
	v_fma_f64 v[31:32], v[27:28], v[31:32], s[18:19]
	v_fma_f64 v[35:36], v[27:28], v[35:36], s[16:17]
	;; [unrolled: 1-line block ×4, first 2 shown]
	s_mov_b32 s16, 0x55555511
	s_mov_b32 s17, 0x3fc55555
	;; [unrolled: 1-line block ×4, first 2 shown]
	v_fma_f64 v[23:24], v[19:20], v[23:24], s[8:9]
	v_fma_f64 v[25:26], v[21:22], v[25:26], s[8:9]
	s_mov_b32 s8, 0x11110bb3
	v_fma_f64 v[31:32], v[27:28], v[31:32], s[8:9]
	v_fma_f64 v[35:36], v[27:28], v[35:36], s[20:21]
	;; [unrolled: 1-line block ×4, first 2 shown]
	s_mov_b32 s8, 11
	s_mov_b32 s9, 0x3fe00000
	v_fma_f64 v[23:24], v[19:20], v[23:24], s[14:15]
	v_fma_f64 v[25:26], v[21:22], v[25:26], s[14:15]
	s_mov_b32 s14, 0x55555555
	v_fma_f64 v[31:32], v[47:48], v[31:32], v[45:46]
	v_fma_f64 v[35:36], v[27:28], v[35:36], s[18:19]
	;; [unrolled: 1-line block ×4, first 2 shown]
	v_mul_f64 v[45:46], v[27:28], v[27:28]
	v_fma_f64 v[23:24], v[19:20], v[23:24], s[16:17]
	v_fma_f64 v[25:26], v[21:22], v[25:26], s[16:17]
	v_fma_f64 v[11:12], v[27:28], v[31:32], -v[11:12]
	v_fma_f64 v[35:36], v[27:28], v[35:36], s[14:15]
	v_mul_f64 v[27:28], v[29:30], v[29:30]
	v_fma_f64 v[31:32], v[29:30], v[41:42], s[14:15]
	v_fma_f64 v[7:8], v[29:30], v[33:34], -v[7:8]
	v_cvt_i32_f64_e32 v33, v[15:16]
	v_fma_f64 v[23:24], v[19:20], v[23:24], s[8:9]
	v_fma_f64 v[25:26], v[21:22], v[25:26], s[8:9]
	s_mov_b32 s9, 0xbfc55555
	s_mov_b32 s8, s14
	v_fma_f64 v[11:12], v[47:48], s[8:9], v[11:12]
	v_fma_f64 v[29:30], v[45:46], v[35:36], v[37:38]
	v_fma_f64 v[7:8], v[55:56], s[8:9], v[7:8]
	v_cmp_ngt_f64_e64 s8, 0xc090cc00, v[3:4]
	v_cmp_class_f64_e64 s9, v[1:2], 0x1f8
	v_fma_f64 v[23:24], v[19:20], v[23:24], 1.0
	v_fma_f64 v[25:26], v[21:22], v[25:26], 1.0
	v_add_f64 v[9:10], v[9:10], -v[11:12]
	v_add_f64 v[5:6], v[5:6], -v[7:8]
	v_fma_f64 v[15:16], v[19:20], v[23:24], 1.0
	v_fma_f64 v[19:20], v[27:28], v[31:32], v[39:40]
	v_cvt_i32_f64_e32 v27, v[17:18]
	v_fma_f64 v[11:12], v[21:22], v[25:26], 1.0
	v_add_f64 v[23:24], v[43:44], v[29:30]
	v_and_b32_e32 v21, 1, v14
	v_lshlrev_b32_e32 v14, 30, v14
	v_cmp_eq_u32_e32 vcc_lo, 0, v21
	v_ldexp_f64 v[15:16], v[15:16], v33
	v_add_f64 v[17:18], v[49:50], v[19:20]
	v_ldexp_f64 v[7:8], v[11:12], v27
	v_xor_b32_e32 v12, v14, v4
	v_cndmask_b32_e32 v10, v24, v10, vcc_lo
	v_cndmask_b32_e32 v9, v23, v9, vcc_lo
	v_and_b32_e32 v14, 1, v13
	v_lshlrev_b32_e32 v13, 30, v13
	v_and_b32_e32 v12, 0x80000000, v12
	v_cndmask_b32_e64 v9, 0, v9, s5
	v_cmp_eq_u32_e32 vcc_lo, 0, v14
	v_xor_b32_e32 v13, v13, v2
	v_xor_b32_e32 v10, v10, v12
	v_cndmask_b32_e64 v10, 0x7ff80000, v10, s5
	v_cmp_nlt_f64_e64 s5, 0x40900000, v[1:2]
	v_cndmask_b32_e64 v11, 0x7ff00000, v16, s7
	s_and_b32 s7, s8, s7
	v_cndmask_b32_e32 v6, v18, v6, vcc_lo
	v_cndmask_b32_e32 v5, v17, v5, vcc_lo
	v_cndmask_b32_e64 v12, 0, v11, s8
	v_cndmask_b32_e64 v11, 0, v15, s7
	v_mov_b32_e32 v15, s33
	v_cndmask_b32_e64 v5, 0, v5, s9
	v_cndmask_b32_e64 v14, 0x7ff00000, v8, s5
	v_mul_f64 v[8:9], v[11:12], v[9:10]
	v_and_b32_e32 v10, 0x80000000, v13
	s_and_b32 vcc_lo, s10, s5
	v_cndmask_b32_e64 v11, 0, v14, s10
	v_xor_b32_e32 v6, v6, v10
	v_cndmask_b32_e32 v10, 0, v7, vcc_lo
	v_cndmask_b32_e64 v6, 0x7ff80000, v6, s9
	v_fma_f64 v[5:6], v[10:11], v[5:6], v[8:9]
	buffer_store_dword v6, off, s[0:3], 0 offset:4
	buffer_store_dword v5, off, s[0:3], 0
.LBB0_10:
	s_or_b32 exec_lo, exec_lo, s11
	v_add_f64 v[3:4], v[3:4], -v[1:2]
	v_sub_nc_u32_e32 v16, 0, v15
	v_mov_b32_e32 v7, 0
	s_mov_b32 s44, 0x11122322
	s_mov_b32 s46, 0x555502a1
	s_mov_b32 s45, 0x3f811111
	s_mov_b32 s47, 0x3fa55555
	s_mov_b32 s62, 0x55555555
	s_mov_b32 s10, 0x54442d18
	s_mov_b32 s18, 0x6dc9c883
	s_mov_b32 s20, 0x33145c00
	s_mov_b32 s22, 0x252049c0
	s_mov_b32 s24, 0x652b82fe
	s_mov_b32 s26, 0xfefa39ef
	s_mov_b32 s28, 0x3b39803f
	s_mov_b32 s30, 0xfca7ab0c
	s_mov_b32 s34, 0x6a5dcb37
	s_mov_b32 s36, 0x623fde64
	s_mov_b32 s38, 0x7c89e6b0
	s_mov_b32 s40, 0x14761f6e
	s_mov_b32 s42, 0x1852b7b0
	s_mov_b32 s48, 0x55555511
	v_ldexp_f64 v[5:6], v[3:4], -16
	s_mov_b32 s50, 11
	s_mov_b32 s52, 0x9037ab78
	;; [unrolled: 1-line block ×10, first 2 shown]
	s_movk_i32 s76, 0x78
	s_mov_b32 s77, 0
	s_mov_b32 s9, 0x3ff921fb
	;; [unrolled: 1-line block ×33, first 2 shown]
	s_branch .LBB0_12
.LBB0_11:                               ;   in Loop: Header=BB0_12 Depth=1
	s_or_b32 exec_lo, exec_lo, s5
	v_mul_f64 v[18:19], v[9:10], s[24:25]
	v_and_b32_e32 v8, v15, v16
	v_mul_f64 v[26:27], v[11:12], v[11:12]
	v_mul_f64 v[36:37], v[13:14], 0.5
	v_cmp_nlt_f64_e64 s7, 0x40900000, v[9:10]
	v_cmp_ngt_f64_e64 s8, 0xc090cc00, v[9:10]
	v_cvt_f32_u32_e32 v8, v8
	v_cmp_class_f64_e64 s5, v[9:10], 0x1f8
	v_add_nc_u32_e32 v15, s33, v15
	v_subrev_nc_u32_e32 v16, s33, v16
	v_cmp_gt_f32_e32 vcc_lo, 0x800000, v8
	v_cndmask_b32_e64 v20, 0, 32, vcc_lo
	v_cndmask_b32_e64 v22, 0, 0x42000000, vcc_lo
	v_ldexp_f32 v8, v8, v20
	v_rndne_f64_e32 v[18:19], v[18:19]
	v_fma_f64 v[28:29], v[26:27], s[66:67], s[64:65]
	v_fma_f64 v[30:31], v[26:27], s[54:55], s[52:53]
	v_log_f32_e32 v8, v8
	v_mul_f64 v[32:33], v[26:27], 0.5
	v_mul_f64 v[38:39], v[11:12], -v[26:27]
	v_sub_f32_e32 v8, v8, v22
	v_add_f32_e32 v8, 1.0, v8
	v_fma_f64 v[20:21], v[18:19], s[26:27], v[9:10]
	v_cvt_u32_f32_e32 v8, v8
	v_fma_f64 v[28:29], v[26:27], v[28:29], s[68:69]
	v_fma_f64 v[30:31], v[26:27], v[30:31], s[56:57]
	v_add_f64 v[34:35], -v[32:33], 1.0
	v_lshlrev_b32_e32 v8, 3, v8
	v_sub_nc_u32_e32 v42, 0, v8
	v_cvt_i32_f64_e32 v8, v[18:19]
	s_clause 0x1
	buffer_load_dword v22, v42, s[0:3], 0 offen offset:136
	buffer_load_dword v23, v42, s[0:3], 0 offen offset:140
	v_fma_f64 v[20:21], v[18:19], s[28:29], v[20:21]
	v_fma_f64 v[28:29], v[26:27], v[28:29], s[70:71]
	;; [unrolled: 1-line block ×3, first 2 shown]
	v_add_f64 v[40:41], -v[34:35], 1.0
	v_fma_f64 v[24:25], v[20:21], s[34:35], s[30:31]
	v_fma_f64 v[28:29], v[26:27], v[28:29], s[72:73]
	;; [unrolled: 1-line block ×3, first 2 shown]
	v_add_f64 v[32:33], v[40:41], -v[32:33]
	v_fma_f64 v[24:25], v[20:21], v[24:25], s[36:37]
	v_fma_f64 v[28:29], v[38:39], v[28:29], v[36:37]
	v_mul_f64 v[36:37], v[26:27], v[26:27]
	v_fma_f64 v[30:31], v[26:27], v[30:31], s[62:63]
	v_fma_f64 v[32:33], v[11:12], -v[13:14], v[32:33]
	v_fma_f64 v[24:25], v[20:21], v[24:25], s[38:39]
	v_fma_f64 v[13:14], v[26:27], v[28:29], -v[13:14]
	v_fma_f64 v[26:27], v[36:37], v[30:31], v[32:33]
	v_fma_f64 v[24:25], v[20:21], v[24:25], s[40:41]
	v_fma_f64 v[13:14], v[38:39], s[74:75], v[13:14]
	v_fma_f64 v[24:25], v[20:21], v[24:25], s[42:43]
	v_add_f64 v[11:12], v[11:12], -v[13:14]
	v_fma_f64 v[24:25], v[20:21], v[24:25], s[44:45]
	v_fma_f64 v[24:25], v[20:21], v[24:25], s[46:47]
	;; [unrolled: 1-line block ×4, first 2 shown]
	v_fma_f64 v[24:25], v[20:21], v[24:25], 1.0
	v_fma_f64 v[18:19], v[20:21], v[24:25], 1.0
	v_add_f64 v[20:21], v[34:35], v[26:27]
	v_ldexp_f64 v[13:14], v[18:19], v8
	v_and_b32_e32 v8, 1, v17
	v_lshlrev_b32_e32 v17, 30, v17
	v_cmp_eq_u32_e32 vcc_lo, 0, v8
	v_xor_b32_e32 v9, v17, v10
	v_cndmask_b32_e32 v10, v21, v12, vcc_lo
	v_and_b32_e32 v9, 0x80000000, v9
	v_cndmask_b32_e32 v8, v20, v11, vcc_lo
	s_and_b32 vcc_lo, s8, s7
	v_xor_b32_e32 v9, v10, v9
	v_cndmask_b32_e64 v8, 0, v8, s5
	v_cndmask_b32_e64 v9, 0x7ff80000, v9, s5
	v_cndmask_b32_e64 v11, 0x7ff00000, v14, s7
	v_cndmask_b32_e32 v10, 0, v13, vcc_lo
	v_cmp_lt_u32_e32 vcc_lo, 0xffff, v15
	v_cndmask_b32_e64 v11, 0, v11, s8
	s_or_b32 s77, vcc_lo, s77
	v_mul_f64 v[8:9], v[10:11], v[8:9]
	s_waitcnt vmcnt(0)
	v_fma_f64 v[8:9], v[8:9], 2.0, v[22:23]
	buffer_store_dword v8, v42, s[0:3], 0 offen offset:136
	buffer_store_dword v9, v42, s[0:3], 0 offen offset:140
	s_andn2_b32 exec_lo, exec_lo, s77
	s_cbranch_execz .LBB0_16
.LBB0_12:                               ; =>This Inner Loop Header: Depth=1
	v_cvt_f64_u32_e32 v[8:9], v15
                                        ; implicit-def: $vgpr17
                                        ; implicit-def: $vgpr11_vgpr12
                                        ; implicit-def: $vgpr13_vgpr14
	v_fma_f64 v[9:10], v[5:6], v[8:9], v[1:2]
	v_cmp_ngt_f64_e64 s5, 0x41d00000, |v[9:10]|
	s_and_saveexec_b32 s7, s5
	s_xor_b32 s5, exec_lo, s7
	s_cbranch_execz .LBB0_14
; %bb.13:                               ;   in Loop: Header=BB0_12 Depth=1
	v_ldexp_f64 v[11:12], |v[9:10]|, 0xffffff80
	v_cmp_le_f64_e64 vcc_lo, 0x7b000000, |v[9:10]|
	v_trig_preop_f64 v[13:14], |v[9:10]|, 0
	v_and_b32_e32 v8, 0x7fffffff, v10
	v_trig_preop_f64 v[17:18], |v[9:10]|, 1
	v_trig_preop_f64 v[27:28], |v[9:10]|, 2
	s_mov_b32 s8, s10
	s_mov_b32 s17, s15
	v_cndmask_b32_e32 v12, v8, v12, vcc_lo
	v_cndmask_b32_e32 v11, v9, v11, vcc_lo
	v_mul_f64 v[19:20], v[13:14], v[11:12]
	v_mul_f64 v[21:22], v[17:18], v[11:12]
	;; [unrolled: 1-line block ×3, first 2 shown]
	v_fma_f64 v[13:14], v[13:14], v[11:12], -v[19:20]
	v_fma_f64 v[17:18], v[17:18], v[11:12], -v[21:22]
	;; [unrolled: 1-line block ×3, first 2 shown]
	v_add_f64 v[23:24], v[21:22], v[13:14]
	v_add_f64 v[25:26], v[23:24], -v[21:22]
	v_add_f64 v[31:32], v[19:20], v[23:24]
	v_add_f64 v[29:30], v[23:24], -v[25:26]
	v_add_f64 v[13:14], v[13:14], -v[25:26]
	v_ldexp_f64 v[25:26], v[31:32], -2
	v_add_f64 v[19:20], v[31:32], -v[19:20]
	v_add_f64 v[21:22], v[21:22], -v[29:30]
	v_add_f64 v[29:30], v[33:34], v[17:18]
	v_cmp_neq_f64_e64 vcc_lo, 0x7ff00000, |v[25:26]|
	v_add_f64 v[19:20], v[23:24], -v[19:20]
	v_add_f64 v[13:14], v[13:14], v[21:22]
	v_fract_f64_e32 v[21:22], v[25:26]
	v_add_f64 v[23:24], v[29:30], v[13:14]
	v_ldexp_f64 v[21:22], v[21:22], 2
	v_add_f64 v[25:26], v[19:20], v[23:24]
	v_cndmask_b32_e32 v22, 0, v22, vcc_lo
	v_cndmask_b32_e32 v21, 0, v21, vcc_lo
	v_add_f64 v[35:36], v[23:24], -v[29:30]
	v_add_f64 v[31:32], v[25:26], v[21:22]
	v_add_f64 v[19:20], v[25:26], -v[19:20]
	v_add_f64 v[41:42], v[23:24], -v[35:36]
	;; [unrolled: 1-line block ×3, first 2 shown]
	v_cmp_gt_f64_e32 vcc_lo, 0, v[31:32]
	v_add_f64 v[31:32], v[29:30], -v[33:34]
	v_cndmask_b32_e64 v8, 0, 0x40100000, vcc_lo
	v_add_f64 v[39:40], v[29:30], -v[31:32]
	v_add_f64 v[17:18], v[17:18], -v[31:32]
	v_add_f64 v[29:30], v[29:30], -v[41:42]
	v_add_f64 v[21:22], v[21:22], v[7:8]
	v_add_f64 v[31:32], v[33:34], -v[39:40]
	v_add_f64 v[13:14], v[13:14], v[29:30]
	v_add_f64 v[37:38], v[25:26], v[21:22]
	v_add_f64 v[17:18], v[17:18], v[31:32]
	v_cvt_i32_f64_e32 v8, v[37:38]
	v_add_f64 v[13:14], v[17:18], v[13:14]
	v_add_f64 v[17:18], v[23:24], -v[19:20]
	v_cvt_f64_i32_e32 v[35:36], v8
	v_add_f64 v[11:12], v[11:12], v[13:14]
	v_add_f64 v[21:22], v[21:22], -v[35:36]
	v_add_f64 v[11:12], v[17:18], v[11:12]
	v_add_f64 v[27:28], v[25:26], v[21:22]
	v_add_f64 v[13:14], v[27:28], -v[21:22]
	v_cmp_le_f64_e32 vcc_lo, 0.5, v[27:28]
	v_add_f64 v[13:14], v[25:26], -v[13:14]
	v_add_co_ci_u32_e64 v17, null, 0, v8, vcc_lo
	v_cndmask_b32_e64 v8, 0, 0x3ff00000, vcc_lo
	v_add_f64 v[11:12], v[11:12], v[13:14]
	v_add_f64 v[13:14], v[27:28], -v[7:8]
	v_add_f64 v[18:19], v[13:14], v[11:12]
	v_mul_f64 v[20:21], v[18:19], s[8:9]
	v_add_f64 v[13:14], v[18:19], -v[13:14]
	v_fma_f64 v[22:23], v[18:19], s[8:9], -v[20:21]
	v_add_f64 v[11:12], v[11:12], -v[13:14]
	v_fma_f64 v[13:14], v[18:19], s[16:17], v[22:23]
	v_fma_f64 v[13:14], v[11:12], s[8:9], v[13:14]
	v_add_f64 v[11:12], v[20:21], v[13:14]
	v_add_f64 v[18:19], v[11:12], -v[20:21]
	v_add_f64 v[13:14], v[13:14], -v[18:19]
.LBB0_14:                               ;   in Loop: Header=BB0_12 Depth=1
	s_andn2_saveexec_b32 s5, s5
	s_cbranch_execz .LBB0_11
; %bb.15:                               ;   in Loop: Header=BB0_12 Depth=1
	v_mul_f64 v[11:12], |v[9:10]|, s[18:19]
	s_mov_b32 s14, s20
	v_rndne_f64_e32 v[17:18], v[11:12]
	v_fma_f64 v[11:12], v[17:18], s[10:11], |v[9:10]|
	v_mul_f64 v[13:14], v[17:18], s[20:21]
	v_fma_f64 v[21:22], v[17:18], s[20:21], v[11:12]
	v_add_f64 v[19:20], v[11:12], v[13:14]
	v_add_f64 v[11:12], v[11:12], -v[19:20]
	v_add_f64 v[19:20], v[19:20], -v[21:22]
	v_add_f64 v[11:12], v[11:12], v[13:14]
	v_fma_f64 v[13:14], v[17:18], s[14:15], v[13:14]
	v_add_f64 v[11:12], v[19:20], v[11:12]
	v_add_f64 v[11:12], v[11:12], -v[13:14]
	v_fma_f64 v[13:14], v[17:18], s[22:23], v[11:12]
	v_cvt_i32_f64_e32 v17, v[17:18]
	v_add_f64 v[11:12], v[21:22], v[13:14]
	v_add_f64 v[19:20], v[11:12], -v[21:22]
	v_add_f64 v[13:14], v[13:14], -v[19:20]
	s_branch .LBB0_11
.LBB0_16:
	s_or_b32 exec_lo, exec_lo, s77
	s_clause 0x21
	buffer_load_dword v1, off, s[0:3], 0
	buffer_load_dword v2, off, s[0:3], 0 offset:4
	buffer_load_dword v8, off, s[0:3], 0 offset:8
	;; [unrolled: 1-line block ×33, first 2 shown]
	v_mad_u32_u24 v7, 0x88, v0, 0
	s_mov_b32 s5, exec_lo
	s_waitcnt vmcnt(30)
	ds_write2_b64 v7, v[1:2], v[8:9] offset1:1
	s_waitcnt vmcnt(26)
	ds_write2_b64 v7, v[10:11], v[12:13] offset0:2 offset1:3
	s_waitcnt vmcnt(22)
	ds_write2_b64 v7, v[14:15], v[16:17] offset0:4 offset1:5
	;; [unrolled: 2-line block ×4, first 2 shown]
	ds_write2_b64 v7, v[26:27], v[28:29] offset0:10 offset1:11
	s_waitcnt vmcnt(6)
	ds_write2_b64 v7, v[30:31], v[32:33] offset0:12 offset1:13
	s_waitcnt vmcnt(2)
	;; [unrolled: 2-line block ×3, first 2 shown]
	ds_write_b64 v7, v[38:39] offset:128
	s_waitcnt lgkmcnt(0)
	s_waitcnt_vscnt null, 0x0
	s_barrier
	buffer_gl0_inv
	v_cmpx_gt_u32_e32 17, v0
	s_cbranch_execnz .LBB0_19
; %bb.17:
	s_or_b32 exec_lo, exec_lo, s5
	s_and_saveexec_b32 s5, s4
	s_cbranch_execnz .LBB0_24
.LBB0_18:
	s_endpgm
.LBB0_19:
	v_mov_b32_e32 v1, 0
	v_mov_b32_e32 v2, 0
	s_mul_i32 s33, s33, 17
	s_mov_b32 s7, exec_lo
	v_cmpx_gt_u32_e64 s33, v0
	s_cbranch_execz .LBB0_23
; %bb.20:
	v_mov_b32_e32 v1, 0
	v_lshl_add_u32 v8, v0, 3, 0
	v_mov_b32_e32 v2, 0
	v_mov_b32_e32 v9, v0
	s_mov_b32 s8, 0
.LBB0_21:                               ; =>This Inner Loop Header: Depth=1
	ds_read_b64 v[10:11], v8
	v_add_nc_u32_e32 v9, 17, v9
	v_add_nc_u32_e32 v8, 0x88, v8
	v_cmp_le_u32_e32 vcc_lo, s33, v9
	s_or_b32 s8, vcc_lo, s8
	s_waitcnt lgkmcnt(0)
	v_add_f64 v[1:2], v[1:2], v[10:11]
	s_andn2_b32 exec_lo, exec_lo, s8
	s_cbranch_execnz .LBB0_21
; %bb.22:
	s_or_b32 exec_lo, exec_lo, s8
.LBB0_23:
	s_or_b32 exec_lo, exec_lo, s7
	v_lshlrev_b32_e32 v0, 7, v0
	v_sub_nc_u32_e32 v0, v7, v0
	ds_write_b64 v0, v[1:2]
	s_or_b32 exec_lo, exec_lo, s5
	s_and_saveexec_b32 s5, s4
	s_cbranch_execz .LBB0_18
.LBB0_24:
	v_mov_b32_e32 v2, 0
	v_mul_f64 v[37:38], v[3:4], 0.5
	v_ldexp_f64 v[39:40], v[3:4], -2
	v_ldexp_f64 v[41:42], v[3:4], -3
	;; [unrolled: 1-line block ×3, first 2 shown]
	ds_read2_b64 v[7:10], v2 offset1:1
	ds_read2_b64 v[11:14], v2 offset0:2 offset1:3
	v_ldexp_f64 v[45:46], v[3:4], -5
	v_ldexp_f64 v[47:48], v[3:4], -6
	;; [unrolled: 1-line block ×7, first 2 shown]
	s_mov_b32 s4, 0
	s_waitcnt lgkmcnt(1)
	v_add_f64 v[0:1], v[7:8], v[9:10]
	v_mul_f64 v[7:8], v[37:38], v[7:8]
	s_waitcnt lgkmcnt(0)
	v_add_f64 v[17:18], v[0:1], v[11:12]
	v_mul_f64 v[0:1], v[39:40], v[0:1]
	v_ldexp_f64 v[39:40], v[3:4], -9
	v_add_f64 v[19:20], v[17:18], v[13:14]
	ds_read2_b64 v[9:12], v2 offset0:4 offset1:5
	ds_read2_b64 v[13:16], v2 offset0:6 offset1:7
	v_mul_f64 v[17:18], v[41:42], v[17:18]
	v_ldexp_f64 v[41:42], v[3:4], -11
	s_waitcnt lgkmcnt(1)
	v_add_f64 v[21:22], v[19:20], v[9:10]
	v_mul_f64 v[19:20], v[43:44], v[19:20]
	v_ldexp_f64 v[43:44], v[3:4], -13
	v_add_f64 v[23:24], v[21:22], v[11:12]
	v_mul_f64 v[21:22], v[45:46], v[21:22]
	v_ldexp_f64 v[45:46], v[3:4], -15
	s_waitcnt lgkmcnt(0)
	v_add_f64 v[25:26], v[23:24], v[13:14]
	v_mul_f64 v[23:24], v[47:48], v[23:24]
	v_add_f64 v[27:28], v[25:26], v[15:16]
	ds_read2_b64 v[9:12], v2 offset0:8 offset1:9
	ds_read2_b64 v[13:16], v2 offset0:10 offset1:11
	v_mul_f64 v[25:26], v[49:50], v[25:26]
	s_waitcnt lgkmcnt(1)
	v_add_f64 v[29:30], v[27:28], v[9:10]
	v_add_f64 v[31:32], v[29:30], v[11:12]
	s_waitcnt lgkmcnt(0)
	v_add_f64 v[33:34], v[31:32], v[13:14]
	v_add_f64 v[35:36], v[33:34], v[15:16]
	ds_read2_b64 v[9:12], v2 offset0:12 offset1:13
	ds_read2_b64 v[13:16], v2 offset0:14 offset1:15
	ds_read_b64 v[37:38], v2 offset:128
	v_ldexp_f64 v[2:3], v[3:4], 0xffffffef
	buffer_store_dword v8, off, s[0:3], 0 offset:4
	buffer_store_dword v7, off, s[0:3], 0
	v_mul_f64 v[7:8], v[51:52], v[27:28]
	v_mul_f64 v[27:28], v[39:40], v[29:30]
	buffer_store_dword v1, off, s[0:3], 0 offset:12
	buffer_store_dword v0, off, s[0:3], 0 offset:8
	v_mul_f64 v[0:1], v[53:54], v[31:32]
	v_mul_f64 v[29:30], v[41:42], v[33:34]
	buffer_store_dword v18, off, s[0:3], 0 offset:20
	buffer_store_dword v17, off, s[0:3], 0 offset:16
	;; [unrolled: 1-line block ×7, first 2 shown]
	s_waitcnt lgkmcnt(2)
	v_add_f64 v[9:10], v[35:36], v[9:10]
	v_mul_f64 v[17:18], v[55:56], v[35:36]
	v_add_f64 v[11:12], v[9:10], v[11:12]
	v_mul_f64 v[9:10], v[43:44], v[9:10]
	s_waitcnt lgkmcnt(1)
	v_add_f64 v[13:14], v[11:12], v[13:14]
	v_mul_f64 v[11:12], v[57:58], v[11:12]
	v_add_f64 v[15:16], v[13:14], v[15:16]
	v_mul_f64 v[13:14], v[45:46], v[13:14]
	s_waitcnt lgkmcnt(0)
	v_add_f64 v[37:38], v[15:16], v[37:38]
	v_mul_f64 v[4:5], v[5:6], v[15:16]
	v_mul_f64 v[2:3], v[2:3], v[37:38]
	buffer_store_dword v23, off, s[0:3], 0 offset:40
	buffer_store_dword v26, off, s[0:3], 0 offset:52
	;; [unrolled: 1-line block ×23, first 2 shown]
.LBB0_25:                               ; =>This Loop Header: Depth=1
                                        ;     Child Loop BB0_26 Depth 2
                                        ;     Child Loop BB0_28 Depth 2
	s_lshl_b32 s5, s4, 1
	s_mov_b32 s7, 16
	s_lshl_b32 s5, 2, s5
	s_add_i32 s5, s5, -1
	v_cvt_f64_u32_e32 v[0:1], s5
	s_mov_b32 s5, s76
	s_inst_prefetch 0x1
	.p2align	6
.LBB0_26:                               ;   Parent Loop BB0_25 Depth=1
                                        ; =>  This Inner Loop Header: Depth=2
	v_mov_b32_e32 v14, s5
	s_add_i32 s7, s7, -1
	s_add_i32 s5, s5, -8
	s_cmp_le_u32 s7, s4
	s_clause 0x3
	buffer_load_dword v2, v14, s[0:3], 0 offen
	buffer_load_dword v3, v14, s[0:3], 0 offen offset:4
	buffer_load_dword v4, v14, s[0:3], 0 offen offset:8
	buffer_load_dword v5, v14, s[0:3], 0 offen offset:12
	s_waitcnt vmcnt(0)
	v_add_f64 v[2:3], v[4:5], -v[2:3]
	v_div_scale_f64 v[6:7], null, v[0:1], v[0:1], v[2:3]
	v_div_scale_f64 v[12:13], vcc_lo, v[2:3], v[0:1], v[2:3]
	v_rcp_f64_e32 v[8:9], v[6:7]
	v_fma_f64 v[10:11], -v[6:7], v[8:9], 1.0
	v_fma_f64 v[8:9], v[8:9], v[10:11], v[8:9]
	v_fma_f64 v[10:11], -v[6:7], v[8:9], 1.0
	v_fma_f64 v[8:9], v[8:9], v[10:11], v[8:9]
	v_mul_f64 v[10:11], v[12:13], v[8:9]
	v_fma_f64 v[6:7], -v[6:7], v[10:11], v[12:13]
	v_div_fmas_f64 v[6:7], v[6:7], v[8:9], v[10:11]
	v_div_fixup_f64 v[2:3], v[6:7], v[0:1], v[2:3]
	v_add_f64 v[2:3], v[4:5], v[2:3]
	buffer_store_dword v2, v14, s[0:3], 0 offen offset:8
	buffer_store_dword v3, v14, s[0:3], 0 offen offset:12
	s_cbranch_scc0 .LBB0_26
; %bb.27:                               ;   in Loop: Header=BB0_25 Depth=1
	s_inst_prefetch 0x2
	s_or_b32 s5, s4, 1
	s_mov_b32 s8, s76
	s_lshl_b32 s7, s5, 1
	s_lshl_b32 s7, 2, s7
	s_add_i32 s7, s7, -1
	v_cvt_f64_u32_e32 v[0:1], s7
	s_mov_b32 s7, 16
	s_inst_prefetch 0x1
	.p2align	6
.LBB0_28:                               ;   Parent Loop BB0_25 Depth=1
                                        ; =>  This Inner Loop Header: Depth=2
	v_mov_b32_e32 v14, s8
	s_add_i32 s7, s7, -1
	s_add_i32 s8, s8, -8
	s_cmp_gt_u32 s7, s5
	s_clause 0x3
	buffer_load_dword v2, v14, s[0:3], 0 offen
	buffer_load_dword v3, v14, s[0:3], 0 offen offset:4
	buffer_load_dword v4, v14, s[0:3], 0 offen offset:8
	;; [unrolled: 1-line block ×3, first 2 shown]
	s_waitcnt vmcnt(0)
	v_add_f64 v[2:3], v[4:5], -v[2:3]
	v_div_scale_f64 v[6:7], null, v[0:1], v[0:1], v[2:3]
	v_div_scale_f64 v[12:13], vcc_lo, v[2:3], v[0:1], v[2:3]
	v_rcp_f64_e32 v[8:9], v[6:7]
	v_fma_f64 v[10:11], -v[6:7], v[8:9], 1.0
	v_fma_f64 v[8:9], v[8:9], v[10:11], v[8:9]
	v_fma_f64 v[10:11], -v[6:7], v[8:9], 1.0
	v_fma_f64 v[8:9], v[8:9], v[10:11], v[8:9]
	v_mul_f64 v[10:11], v[12:13], v[8:9]
	v_fma_f64 v[6:7], -v[6:7], v[10:11], v[12:13]
	v_div_fmas_f64 v[6:7], v[6:7], v[8:9], v[10:11]
	v_div_fixup_f64 v[2:3], v[6:7], v[0:1], v[2:3]
	v_add_f64 v[2:3], v[4:5], v[2:3]
	buffer_store_dword v2, v14, s[0:3], 0 offen offset:8
	buffer_store_dword v3, v14, s[0:3], 0 offen offset:12
	s_cbranch_scc1 .LBB0_28
; %bb.29:                               ;   in Loop: Header=BB0_25 Depth=1
	s_inst_prefetch 0x2
	s_add_i32 s4, s4, 2
	s_cmp_eq_u32 s4, 16
	s_cbranch_scc0 .LBB0_25
; %bb.30:
	s_clause 0x1
	buffer_load_dword v0, off, s[0:3], 0 offset:128
	buffer_load_dword v1, off, s[0:3], 0 offset:132
	s_mov_b32 s7, 0
	v_mov_b32_e32 v2, 0
	s_lshl_b64 s[4:5], s[6:7], 3
	s_add_u32 s4, s12, s4
	s_addc_u32 s5, s13, s5
	s_waitcnt vmcnt(0)
	global_store_dwordx2 v2, v[0:1], s[4:5]
	s_endpgm
	.section	.rodata,"a",@progbits
	.p2align	6, 0x0
	.amdhsa_kernel _Z7rombergddPd
		.amdhsa_group_segment_fixed_size 0
		.amdhsa_private_segment_fixed_size 144
		.amdhsa_kernarg_size 280
		.amdhsa_user_sgpr_count 6
		.amdhsa_user_sgpr_private_segment_buffer 1
		.amdhsa_user_sgpr_dispatch_ptr 0
		.amdhsa_user_sgpr_queue_ptr 0
		.amdhsa_user_sgpr_kernarg_segment_ptr 1
		.amdhsa_user_sgpr_dispatch_id 0
		.amdhsa_user_sgpr_flat_scratch_init 0
		.amdhsa_user_sgpr_private_segment_size 0
		.amdhsa_wavefront_size32 1
		.amdhsa_uses_dynamic_stack 0
		.amdhsa_system_sgpr_private_segment_wavefront_offset 1
		.amdhsa_system_sgpr_workgroup_id_x 1
		.amdhsa_system_sgpr_workgroup_id_y 0
		.amdhsa_system_sgpr_workgroup_id_z 0
		.amdhsa_system_sgpr_workgroup_info 0
		.amdhsa_system_vgpr_workitem_id 0
		.amdhsa_next_free_vgpr 59
		.amdhsa_next_free_sgpr 78
		.amdhsa_reserve_vcc 1
		.amdhsa_reserve_flat_scratch 0
		.amdhsa_float_round_mode_32 0
		.amdhsa_float_round_mode_16_64 0
		.amdhsa_float_denorm_mode_32 3
		.amdhsa_float_denorm_mode_16_64 3
		.amdhsa_dx10_clamp 1
		.amdhsa_ieee_mode 1
		.amdhsa_fp16_overflow 0
		.amdhsa_workgroup_processor_mode 1
		.amdhsa_memory_ordered 1
		.amdhsa_forward_progress 1
		.amdhsa_shared_vgpr_count 0
		.amdhsa_exception_fp_ieee_invalid_op 0
		.amdhsa_exception_fp_denorm_src 0
		.amdhsa_exception_fp_ieee_div_zero 0
		.amdhsa_exception_fp_ieee_overflow 0
		.amdhsa_exception_fp_ieee_underflow 0
		.amdhsa_exception_fp_ieee_inexact 0
		.amdhsa_exception_int_div_zero 0
	.end_amdhsa_kernel
	.text
.Lfunc_end0:
	.size	_Z7rombergddPd, .Lfunc_end0-_Z7rombergddPd
                                        ; -- End function
	.set _Z7rombergddPd.num_vgpr, 59
	.set _Z7rombergddPd.num_agpr, 0
	.set _Z7rombergddPd.numbered_sgpr, 78
	.set _Z7rombergddPd.num_named_barrier, 0
	.set _Z7rombergddPd.private_seg_size, 144
	.set _Z7rombergddPd.uses_vcc, 1
	.set _Z7rombergddPd.uses_flat_scratch, 0
	.set _Z7rombergddPd.has_dyn_sized_stack, 0
	.set _Z7rombergddPd.has_recursion, 0
	.set _Z7rombergddPd.has_indirect_call, 0
	.section	.AMDGPU.csdata,"",@progbits
; Kernel info:
; codeLenInByte = 7224
; TotalNumSgprs: 80
; NumVgprs: 59
; ScratchSize: 144
; MemoryBound: 0
; FloatMode: 240
; IeeeMode: 1
; LDSByteSize: 0 bytes/workgroup (compile time only)
; SGPRBlocks: 0
; VGPRBlocks: 7
; NumSGPRsForWavesPerEU: 80
; NumVGPRsForWavesPerEU: 59
; Occupancy: 16
; WaveLimiterHint : 0
; COMPUTE_PGM_RSRC2:SCRATCH_EN: 1
; COMPUTE_PGM_RSRC2:USER_SGPR: 6
; COMPUTE_PGM_RSRC2:TRAP_HANDLER: 0
; COMPUTE_PGM_RSRC2:TGID_X_EN: 1
; COMPUTE_PGM_RSRC2:TGID_Y_EN: 0
; COMPUTE_PGM_RSRC2:TGID_Z_EN: 0
; COMPUTE_PGM_RSRC2:TIDIG_COMP_CNT: 0
	.text
	.p2alignl 6, 3214868480
	.fill 48, 4, 3214868480
	.section	.AMDGPU.gpr_maximums,"",@progbits
	.set amdgpu.max_num_vgpr, 0
	.set amdgpu.max_num_agpr, 0
	.set amdgpu.max_num_sgpr, 0
	.text
	.type	__hip_cuid_7fce14a260530785,@object ; @__hip_cuid_7fce14a260530785
	.section	.bss,"aw",@nobits
	.globl	__hip_cuid_7fce14a260530785
__hip_cuid_7fce14a260530785:
	.byte	0                               ; 0x0
	.size	__hip_cuid_7fce14a260530785, 1

	.ident	"AMD clang version 22.0.0git (https://github.com/RadeonOpenCompute/llvm-project roc-7.2.4 26084 f58b06dce1f9c15707c5f808fd002e18c2accf7e)"
	.section	".note.GNU-stack","",@progbits
	.addrsig
	.addrsig_sym __hip_cuid_7fce14a260530785
	.amdgpu_metadata
---
amdhsa.kernels:
  - .args:
      - .offset:         0
        .size:           8
        .value_kind:     by_value
      - .offset:         8
        .size:           8
        .value_kind:     by_value
      - .address_space:  global
        .offset:         16
        .size:           8
        .value_kind:     global_buffer
      - .offset:         24
        .size:           4
        .value_kind:     hidden_block_count_x
      - .offset:         28
        .size:           4
        .value_kind:     hidden_block_count_y
      - .offset:         32
        .size:           4
        .value_kind:     hidden_block_count_z
      - .offset:         36
        .size:           2
        .value_kind:     hidden_group_size_x
      - .offset:         38
        .size:           2
        .value_kind:     hidden_group_size_y
      - .offset:         40
        .size:           2
        .value_kind:     hidden_group_size_z
      - .offset:         42
        .size:           2
        .value_kind:     hidden_remainder_x
      - .offset:         44
        .size:           2
        .value_kind:     hidden_remainder_y
      - .offset:         46
        .size:           2
        .value_kind:     hidden_remainder_z
      - .offset:         64
        .size:           8
        .value_kind:     hidden_global_offset_x
      - .offset:         72
        .size:           8
        .value_kind:     hidden_global_offset_y
      - .offset:         80
        .size:           8
        .value_kind:     hidden_global_offset_z
      - .offset:         88
        .size:           2
        .value_kind:     hidden_grid_dims
      - .offset:         144
        .size:           4
        .value_kind:     hidden_dynamic_lds_size
    .group_segment_fixed_size: 0
    .kernarg_segment_align: 8
    .kernarg_segment_size: 280
    .language:       OpenCL C
    .language_version:
      - 2
      - 0
    .max_flat_workgroup_size: 1024
    .name:           _Z7rombergddPd
    .private_segment_fixed_size: 144
    .sgpr_count:     80
    .sgpr_spill_count: 0
    .symbol:         _Z7rombergddPd.kd
    .uniform_work_group_size: 1
    .uses_dynamic_stack: false
    .vgpr_count:     59
    .vgpr_spill_count: 0
    .wavefront_size: 32
    .workgroup_processor_mode: 1
amdhsa.target:   amdgcn-amd-amdhsa--gfx1030
amdhsa.version:
  - 1
  - 2
...

	.end_amdgpu_metadata
